;; amdgpu-corpus repo=ROCm/rocFFT kind=compiled arch=gfx1201 opt=O3
	.text
	.amdgcn_target "amdgcn-amd-amdhsa--gfx1201"
	.amdhsa_code_object_version 6
	.protected	fft_rtc_fwd_len49_factors_7_7_wgs_196_tpt_7_half_op_CI_CI_sbrc_xy_z_diag_dirReg ; -- Begin function fft_rtc_fwd_len49_factors_7_7_wgs_196_tpt_7_half_op_CI_CI_sbrc_xy_z_diag_dirReg
	.globl	fft_rtc_fwd_len49_factors_7_7_wgs_196_tpt_7_half_op_CI_CI_sbrc_xy_z_diag_dirReg
	.p2align	8
	.type	fft_rtc_fwd_len49_factors_7_7_wgs_196_tpt_7_half_op_CI_CI_sbrc_xy_z_diag_dirReg,@function
fft_rtc_fwd_len49_factors_7_7_wgs_196_tpt_7_half_op_CI_CI_sbrc_xy_z_diag_dirReg: ; @fft_rtc_fwd_len49_factors_7_7_wgs_196_tpt_7_half_op_CI_CI_sbrc_xy_z_diag_dirReg
; %bb.0:
	s_load_b256 s[4:11], s[0:1], 0x0
	v_mul_u32_u24_e32 v1, 0x53a, v0
	s_delay_alu instid0(VALU_DEP_1) | instskip(NEXT) | instid1(VALU_DEP_1)
	v_lshrrev_b32_e32 v18, 16, v1
	v_mul_lo_u16 v1, v18, 49
	s_delay_alu instid0(VALU_DEP_1) | instskip(SKIP_3) | instid1(VALU_DEP_1)
	v_sub_nc_u16 v19, v0, v1
	s_wait_kmcnt 0x0
	s_load_b128 s[12:15], s[8:9], 0x8
	s_load_b128 s[16:19], s[10:11], 0x0
	v_and_b32_e32 v7, 0xffff, v19
	s_mov_b32 s9, 0
	s_wait_kmcnt 0x0
	s_add_co_i32 s2, s14, -1
	s_delay_alu instid0(SALU_CYCLE_1) | instskip(NEXT) | instid1(SALU_CYCLE_1)
	s_lshr_b32 s2, s2, 2
	s_mul_hi_u32 s2, s2, 0x24924925
	s_delay_alu instid0(SALU_CYCLE_1) | instskip(NEXT) | instid1(SALU_CYCLE_1)
	s_add_co_i32 s2, s2, 1
	s_mul_i32 s2, s2, s12
	s_delay_alu instid0(SALU_CYCLE_1) | instskip(SKIP_1) | instid1(SALU_CYCLE_2)
	s_cvt_f32_u32 s3, s2
	s_sub_co_i32 s12, 0, s2
	v_rcp_iflag_f32_e32 v2, s3
	s_load_b32 s3, s[10:11], 0x10
	s_delay_alu instid0(TRANS32_DEP_1) | instskip(SKIP_2) | instid1(VALU_DEP_3)
	v_readfirstlane_b32 s8, v2
	v_mov_b32_e32 v2, 0
	v_mad_co_u64_u32 v[3:4], null, s16, v7, 0
	s_mul_f32 s8, s8, 0x4f7ffffe
	s_delay_alu instid0(SALU_CYCLE_3) | instskip(SKIP_2) | instid1(SALU_CYCLE_1)
	s_cvt_u32_f32 s8, s8
	s_wait_kmcnt 0x0
	v_mul_lo_u32 v1, s3, v18
	s_mul_i32 s12, s12, s8
	s_delay_alu instid0(SALU_CYCLE_1) | instskip(NEXT) | instid1(SALU_CYCLE_1)
	s_mul_hi_u32 s12, s8, s12
	s_add_co_i32 s8, s8, s12
	s_clause 0x1
	s_load_b128 s[12:15], s[0:1], 0x58
	s_load_b64 s[20:21], s[0:1], 0x20
	s_mul_hi_u32 s8, ttmp9, s8
	v_lshlrev_b64_e32 v[5:6], 2, v[1:2]
	s_mul_i32 s0, s8, s2
	s_add_co_i32 s1, s8, 1
	s_sub_co_i32 s0, ttmp9, s0
	s_delay_alu instid0(SALU_CYCLE_1)
	s_sub_co_i32 s16, s0, s2
	s_cmp_ge_u32 s0, s2
	v_mad_co_u64_u32 v[7:8], null, s17, v7, v[4:5]
	s_cselect_b32 s1, s1, s8
	s_wait_alu 0xfffe
	s_cselect_b32 s0, s16, s0
	s_add_co_i32 s8, s1, 1
	s_cmp_ge_u32 s0, s2
	s_mov_b32 s17, s9
	s_cselect_b32 s16, s8, s1
	s_lshl_b64 s[6:7], s[6:7], 3
	s_wait_alu 0xfffe
	s_mul_i32 s0, s16, s2
	s_lshl_b32 s19, s3, 2
	s_sub_co_i32 s2, ttmp9, s0
	s_add_nc_u64 s[0:1], s[10:11], s[6:7]
	s_wait_alu 0xfffe
	s_mul_hi_u32 s8, s2, 0x24924925
	s_load_b64 s[0:1], s[0:1], 0x0
	s_sub_co_i32 s10, s2, s8
	v_dual_mov_b32 v4, v7 :: v_dual_add_nc_u32 v1, s19, v1
	s_lshr_b32 s10, s10, 1
	s_wait_kmcnt 0x0
	s_add_nc_u64 s[6:7], s[20:21], s[6:7]
	s_add_co_i32 s10, s10, s8
	v_lshlrev_b64_e32 v[8:9], 2, v[1:2]
	s_lshr_b32 s8, s10, 2
	v_add_nc_u32_e32 v1, s19, v1
	s_mul_i32 s10, s8, 7
	v_lshlrev_b64_e32 v[3:4], 2, v[3:4]
	s_sub_co_i32 s11, s2, s10
	s_delay_alu instid0(SALU_CYCLE_1)
	s_add_co_i32 s8, s8, s11
	s_mul_i32 s11, s11, 28
	s_mul_hi_u32 s2, s8, 0x5397829d
	s_mul_i32 s3, s11, s3
	s_wait_alu 0xfffe
	s_lshr_b32 s2, s2, 4
	v_lshlrev_b64_e32 v[10:11], 2, v[1:2]
	s_wait_alu 0xfffe
	s_mul_i32 s2, s2, 49
	s_mul_u64 s[0:1], s[0:1], s[16:17]
	s_wait_alu 0xfffe
	s_sub_co_i32 s10, s8, s2
	s_lshl_b64 s[0:1], s[0:1], 2
	s_mul_i32 s2, s10, s18
	s_add_nc_u64 s[0:1], s[12:13], s[0:1]
	s_wait_alu 0xfffe
	s_add_co_i32 s8, s2, s3
	v_add_nc_u32_e32 v1, s19, v1
	s_lshl_b64 s[2:3], s[8:9], 2
	s_wait_alu 0xfffe
	s_add_nc_u64 s[0:1], s[0:1], s[2:3]
	s_delay_alu instid0(SALU_CYCLE_1) | instskip(SKIP_3) | instid1(VALU_DEP_4)
	v_add_co_u32 v20, vcc_lo, s0, v3
	v_lshlrev_b64_e32 v[12:13], 2, v[1:2]
	v_add_nc_u32_e32 v1, s19, v1
	v_add_co_ci_u32_e32 v21, vcc_lo, s1, v4, vcc_lo
	v_add_co_u32 v5, vcc_lo, v20, v5
	s_delay_alu instid0(VALU_DEP_3)
	v_lshlrev_b64_e32 v[14:15], 2, v[1:2]
	v_add_nc_u32_e32 v1, s19, v1
	s_wait_alu 0xfffd
	v_add_co_ci_u32_e32 v6, vcc_lo, v21, v6, vcc_lo
	v_add_co_u32 v7, vcc_lo, v20, v8
	s_wait_alu 0xfffd
	v_add_co_ci_u32_e32 v8, vcc_lo, v21, v9, vcc_lo
	v_add_co_u32 v9, vcc_lo, v20, v10
	v_lshlrev_b64_e32 v[16:17], 2, v[1:2]
	v_add_nc_u32_e32 v1, s19, v1
	s_wait_alu 0xfffd
	v_add_co_ci_u32_e32 v10, vcc_lo, v21, v11, vcc_lo
	v_add_co_u32 v11, vcc_lo, v20, v12
	s_wait_alu 0xfffd
	v_add_co_ci_u32_e32 v12, vcc_lo, v21, v13, vcc_lo
	v_lshlrev_b64_e32 v[3:4], 2, v[1:2]
	v_add_co_u32 v13, vcc_lo, v20, v14
	s_wait_alu 0xfffd
	v_add_co_ci_u32_e32 v14, vcc_lo, v21, v15, vcc_lo
	v_add_co_u32 v15, vcc_lo, v20, v16
	s_wait_alu 0xfffd
	v_add_co_ci_u32_e32 v16, vcc_lo, v21, v17, vcc_lo
	v_add_co_u32 v3, vcc_lo, v20, v3
	s_wait_alu 0xfffd
	v_add_co_ci_u32_e32 v4, vcc_lo, v21, v4, vcc_lo
	s_clause 0x6
	global_load_b32 v1, v[5:6], off
	global_load_b32 v5, v[7:8], off
	;; [unrolled: 1-line block ×7, first 2 shown]
	v_mul_u32_u24_e32 v4, 0x925, v0
	v_mul_lo_u16 v11, v19, 28
	v_lshlrev_b32_e32 v15, 2, v18
	s_clause 0x1
	s_load_b128 s[0:3], s[20:21], 0x0
	s_load_b64 s[6:7], s[6:7], 0x0
	v_lshrrev_b32_e32 v10, 16, v4
	v_and_b32_e32 v11, 0xffff, v11
	s_wait_kmcnt 0x0
	s_load_b32 s3, s[20:21], 0x10
	s_delay_alu instid0(VALU_DEP_2) | instskip(NEXT) | instid1(VALU_DEP_2)
	v_mul_lo_u16 v4, v10, 28
	v_lshlrev_b32_e32 v11, 2, v11
	v_mul_lo_u16 v13, v10, 37
	s_delay_alu instid0(VALU_DEP_3) | instskip(SKIP_1) | instid1(VALU_DEP_3)
	v_sub_nc_u16 v4, v0, v4
	v_mul_u32_u24_e32 v0, 0x14f, v0
	v_lshrrev_b16 v13, 8, v13
	s_delay_alu instid0(VALU_DEP_3) | instskip(SKIP_1) | instid1(VALU_DEP_3)
	v_and_b32_e32 v12, 0xffff, v4
	v_mul_u32_u24_e32 v4, 0x70, v10
	v_mul_lo_u16 v13, v13, 7
	v_lshrrev_b32_e32 v0, 16, v0
	s_delay_alu instid0(VALU_DEP_4) | instskip(SKIP_2) | instid1(VALU_DEP_2)
	v_lshlrev_b32_e32 v14, 2, v12
	s_wait_kmcnt 0x0
	s_mul_i32 s8, s10, s3
	v_mul_lo_u16 v0, v0, 49
	s_delay_alu instid0(VALU_DEP_2) | instskip(SKIP_2) | instid1(VALU_DEP_4)
	v_add3_u32 v27, 0, v4, v14
	v_add3_u32 v4, 0, v11, v15
	;; [unrolled: 1-line block ×3, first 2 shown]
	v_and_b32_e32 v0, 0xffff, v0
	s_wait_loadcnt 0x6
	ds_store_b32 v4, v1
	s_wait_loadcnt 0x4
	ds_store_2addr_b32 v11, v5, v6 offset0:4 offset1:8
	s_wait_loadcnt 0x2
	ds_store_2addr_b32 v11, v7, v8 offset0:12 offset1:16
	;; [unrolled: 2-line block ×3, first 2 shown]
	v_add_nc_u32_e32 v21, 0x600, v27
	v_add_nc_u32_e32 v23, 0xc00, v27
	global_wb scope:SCOPE_SE
	s_wait_dscnt 0x0
	s_barrier_signal -1
	s_barrier_wait -1
	global_inv scope:SCOPE_SE
	ds_load_2addr_b32 v[3:4], v27 offset1:196
	ds_load_2addr_b32 v[5:6], v21 offset0:8 offset1:204
	ds_load_b32 v1, v27 offset:4704
	ds_load_2addr_b32 v[7:8], v23 offset0:16 offset1:212
	v_sub_nc_u16 v9, v10, v13
	v_mad_u32_u24 v10, 0x2a0, v10, v27
	global_wb scope:SCOPE_SE
	s_wait_dscnt 0x0
	s_barrier_signal -1
	s_barrier_wait -1
	v_and_b32_e32 v9, 0xff, v9
	global_inv scope:SCOPE_SE
	v_mul_u32_u24_e32 v11, 6, v9
	v_add_nc_u32_e32 v0, v9, v0
	s_delay_alu instid0(VALU_DEP_2)
	v_lshlrev_b32_e32 v11, 2, v11
	v_pk_add_f16 v13, v4, v1
	v_pk_add_f16 v14, v5, v8
	v_pk_add_f16 v5, v5, v8 neg_lo:[0,1] neg_hi:[0,1]
	v_pk_add_f16 v8, v6, v7
	v_pk_add_f16 v1, v4, v1 neg_lo:[0,1] neg_hi:[0,1]
	v_pk_add_f16 v6, v7, v6 neg_lo:[0,1] neg_hi:[0,1]
	v_pk_add_f16 v4, v14, v13
	v_pk_add_f16 v7, v14, v13 neg_lo:[0,1] neg_hi:[0,1]
	v_pk_add_f16 v13, v13, v8 neg_lo:[0,1] neg_hi:[0,1]
	v_pk_add_f16 v17, v5, v1 op_sel:[1,1] op_sel_hi:[0,0] neg_lo:[0,1] neg_hi:[0,1]
	v_pk_add_f16 v15, v6, v5 op_sel:[1,1] op_sel_hi:[0,0]
	v_pk_add_f16 v4, v8, v4
	v_pk_add_f16 v16, v1, v6 op_sel:[1,1] op_sel_hi:[0,0] neg_lo:[0,1] neg_hi:[0,1]
	v_pk_add_f16 v14, v8, v14 neg_lo:[0,1] neg_hi:[0,1]
	v_pk_add_f16 v5, v6, v5 op_sel:[1,1] op_sel_hi:[0,0] neg_lo:[0,1] neg_hi:[0,1]
	v_pk_mul_f16 v6, 0x3a52, v13 op_sel_hi:[0,1]
	v_pk_mul_f16 v8, 0x3b00, v17 op_sel_hi:[0,1]
	;; [unrolled: 1-line block ×3, first 2 shown]
	v_pk_add_f16 v3, v4, v3
	v_pk_add_f16 v1, v15, v1 op_sel:[0,1] op_sel_hi:[1,0]
	v_pk_mul_f16 v15, 0x3574, v16 op_sel_hi:[0,1]
	v_pk_fma_f16 v7, 0x39e0, v7, v6 op_sel_hi:[0,1,1] neg_lo:[0,1,1] neg_hi:[0,1,1]
	v_pk_fma_f16 v16, 0x3574, v16, v8 op_sel_hi:[0,1,1] neg_lo:[0,1,1] neg_hi:[0,1,1]
	;; [unrolled: 1-line block ×3, first 2 shown]
	v_pk_fma_f16 v4, 0xbcab, v4, v3 op_sel_hi:[0,1,1]
	v_pk_fma_f16 v8, 0xb846, v5, v8 op_sel_hi:[0,1,1] neg_lo:[0,1,0] neg_hi:[0,1,0]
	v_pk_fma_f16 v6, 0x2b26, v14, v6 op_sel_hi:[0,1,1]
	v_pk_fma_f16 v5, 0xb846, v5, v15 op_sel_hi:[0,1,1]
	;; [unrolled: 1-line block ×3, first 2 shown]
	v_pk_add_f16 v7, v7, v4
	v_pk_fma_f16 v8, 0x370e, v1, v8 op_sel_hi:[0,1,1]
	v_pk_add_f16 v13, v13, v4
	v_pk_fma_f16 v1, 0x370e, v1, v5 op_sel_hi:[0,1,1]
	v_pk_add_f16 v4, v6, v4
	v_pk_add_f16 v5, v7, v14
	v_pk_add_f16 v6, v7, v14 neg_lo:[0,1] neg_hi:[0,1]
	v_pk_add_f16 v7, v13, v8 neg_lo:[0,1] neg_hi:[0,1]
	v_pk_add_f16 v8, v13, v8
	v_pk_add_f16 v13, v4, v1
	v_pk_add_f16 v1, v4, v1 neg_lo:[0,1] neg_hi:[0,1]
	v_bfi_b32 v4, 0xffff, v5, v6
	v_bfi_b32 v5, 0xffff, v6, v5
	;; [unrolled: 1-line block ×6, first 2 shown]
	ds_store_2addr_b32 v10, v4, v14 offset0:56 offset1:84
	ds_store_2addr_b32 v10, v7, v5 offset0:112 offset1:140
	ds_store_2addr_b32 v10, v3, v6 offset1:28
	ds_store_b32 v10, v1 offset:672
	global_wb scope:SCOPE_SE
	s_wait_dscnt 0x0
	s_barrier_signal -1
	s_barrier_wait -1
	global_inv scope:SCOPE_SE
	s_clause 0x1
	global_load_b128 v[3:6], v11, s[4:5]
	global_load_b64 v[7:8], v11, s[4:5] offset:16
	v_add_co_u32 v1, s4, s11, v12
	s_delay_alu instid0(VALU_DEP_1) | instskip(SKIP_1) | instid1(VALU_DEP_2)
	v_add_co_ci_u32_e64 v10, null, 0, 0, s4
	s_mul_i32 s4, s2, 7
	v_mul_lo_u32 v12, v1, s1
	ds_load_2addr_b32 v[19:20], v27 offset1:196
	ds_load_2addr_b32 v[21:22], v21 offset0:8 offset1:204
	v_mul_lo_u32 v11, v10, s0
	v_mad_co_u64_u32 v[9:10], null, v1, s0, 0
	v_mul_lo_u32 v1, v0, s2
	s_mul_u64 s[0:1], s[6:7], s[16:17]
	s_lshl_b64 s[2:3], s[8:9], 2
	s_wait_alu 0xfffe
	s_lshl_b64 s[0:1], s[0:1], 2
	ds_load_2addr_b32 v[23:24], v23 offset0:16 offset1:212
	s_wait_alu 0xfffe
	s_add_nc_u64 s[0:1], s[14:15], s[0:1]
	v_add3_u32 v10, v10, v12, v11
	s_wait_alu 0xfffe
	s_add_nc_u64 s[0:1], s[0:1], s[2:3]
	v_lshlrev_b64_e32 v[11:12], 2, v[1:2]
	v_add_nc_u32_e32 v1, s4, v1
	ds_load_b32 v27, v27 offset:4704
	v_lshlrev_b64_e32 v[9:10], 2, v[9:10]
	v_lshlrev_b64_e32 v[13:14], 2, v[1:2]
	v_add_nc_u32_e32 v1, s4, v1
	s_wait_dscnt 0x3
	v_lshrrev_b32_e32 v33, 16, v19
	s_wait_alu 0xfffe
	v_add_co_u32 v28, vcc_lo, s0, v9
	s_wait_alu 0xfffd
	v_add_co_ci_u32_e32 v29, vcc_lo, s1, v10, vcc_lo
	v_lshlrev_b64_e32 v[9:10], 2, v[1:2]
	v_add_nc_u32_e32 v1, s4, v1
	v_add_co_u32 v11, vcc_lo, v28, v11
	s_wait_alu 0xfffd
	v_add_co_ci_u32_e32 v12, vcc_lo, v29, v12, vcc_lo
	s_delay_alu instid0(VALU_DEP_3) | instskip(SKIP_4) | instid1(VALU_DEP_3)
	v_lshlrev_b64_e32 v[15:16], 2, v[1:2]
	v_add_nc_u32_e32 v1, s4, v1
	v_add_co_u32 v13, vcc_lo, v28, v13
	s_wait_alu 0xfffd
	v_add_co_ci_u32_e32 v14, vcc_lo, v29, v14, vcc_lo
	v_lshlrev_b64_e32 v[17:18], 2, v[1:2]
	v_add_nc_u32_e32 v1, s4, v1
	v_add_co_u32 v9, vcc_lo, v28, v9
	s_wait_alu 0xfffd
	v_add_co_ci_u32_e32 v10, vcc_lo, v29, v10, vcc_lo
	s_delay_alu instid0(VALU_DEP_3)
	v_lshlrev_b64_e32 v[25:26], 2, v[1:2]
	v_add_nc_u32_e32 v1, s4, v1
	v_add_co_u32 v15, vcc_lo, v28, v15
	s_wait_alu 0xfffd
	v_add_co_ci_u32_e32 v16, vcc_lo, v29, v16, vcc_lo
	v_add_co_u32 v17, vcc_lo, v28, v17
	v_lshlrev_b64_e32 v[0:1], 2, v[1:2]
	s_wait_alu 0xfffd
	v_add_co_ci_u32_e32 v18, vcc_lo, v29, v18, vcc_lo
	v_add_co_u32 v25, vcc_lo, v28, v25
	s_wait_alu 0xfffd
	v_add_co_ci_u32_e32 v26, vcc_lo, v29, v26, vcc_lo
	v_add_co_u32 v0, vcc_lo, v28, v0
	s_wait_alu 0xfffd
	v_add_co_ci_u32_e32 v1, vcc_lo, v29, v1, vcc_lo
	v_lshrrev_b32_e32 v2, 16, v20
	s_wait_dscnt 0x2
	v_lshrrev_b32_e32 v28, 16, v21
	v_lshrrev_b32_e32 v29, 16, v22
	s_wait_dscnt 0x1
	v_lshrrev_b32_e32 v30, 16, v23
	;; [unrolled: 3-line block ×3, first 2 shown]
	s_wait_loadcnt 0x1
	v_lshrrev_b32_e32 v34, 16, v3
	v_lshrrev_b32_e32 v35, 16, v4
	v_lshrrev_b32_e32 v36, 16, v5
	v_lshrrev_b32_e32 v37, 16, v6
	s_wait_loadcnt 0x0
	v_lshrrev_b32_e32 v38, 16, v7
	v_lshrrev_b32_e32 v39, 16, v8
	v_mul_f16_e32 v40, v34, v2
	v_mul_f16_e32 v34, v34, v20
	;; [unrolled: 1-line block ×12, first 2 shown]
	v_fma_f16 v20, v3, v20, -v40
	v_fmac_f16_e32 v34, v3, v2
	v_fma_f16 v2, v4, v21, -v41
	v_fmac_f16_e32 v35, v4, v28
	;; [unrolled: 2-line block ×3, first 2 shown]
	v_fma_f16 v4, v6, v23, -v43
	v_fma_f16 v5, v8, v27, -v45
	v_fmac_f16_e32 v39, v8, v32
	v_fmac_f16_e32 v37, v6, v30
	v_fma_f16 v6, v7, v24, -v44
	v_fmac_f16_e32 v38, v7, v31
	v_add_f16_e32 v7, v20, v5
	v_add_f16_e32 v8, v34, v39
	v_sub_f16_e32 v5, v20, v5
	v_add_f16_e32 v21, v2, v6
	v_add_f16_e32 v22, v35, v38
	v_sub_f16_e32 v20, v34, v39
	v_sub_f16_e32 v2, v2, v6
	;; [unrolled: 1-line block ×3, first 2 shown]
	v_add_f16_e32 v23, v3, v4
	v_add_f16_e32 v24, v36, v37
	v_sub_f16_e32 v3, v4, v3
	v_sub_f16_e32 v4, v37, v36
	v_add_f16_e32 v27, v21, v7
	v_add_f16_e32 v28, v22, v8
	v_sub_f16_e32 v29, v21, v7
	v_sub_f16_e32 v30, v22, v8
	v_sub_f16_e32 v7, v7, v23
	v_sub_f16_e32 v8, v8, v24
	v_sub_f16_e32 v21, v23, v21
	v_sub_f16_e32 v22, v24, v22
	v_add_f16_e32 v31, v3, v2
	v_add_f16_e32 v32, v4, v6
	v_sub_f16_e32 v34, v3, v2
	v_sub_f16_e32 v35, v4, v6
	;; [unrolled: 1-line block ×3, first 2 shown]
	v_add_f16_e32 v23, v23, v27
	v_add_f16_e32 v24, v24, v28
	v_sub_f16_e32 v2, v2, v5
	v_sub_f16_e32 v3, v5, v3
	v_sub_f16_e32 v4, v20, v4
	v_add_f16_e32 v5, v31, v5
	v_add_f16_e32 v20, v32, v20
	v_mul_f16_e32 v7, 0x3a52, v7
	v_mul_f16_e32 v8, 0x3a52, v8
	;; [unrolled: 1-line block ×7, first 2 shown]
	v_add_f16_e32 v19, v23, v19
	v_add_f16_e32 v33, v24, v33
	v_mul_f16_e32 v34, 0x3b00, v2
	v_fmamk_f16 v21, v21, 0x2b26, v7
	v_fmamk_f16 v22, v22, 0x2b26, v8
	v_fma_f16 v27, v29, 0x39e0, -v27
	v_fma_f16 v28, v30, 0x39e0, -v28
	v_fma_f16 v7, v29, 0xb9e0, -v7
	v_fma_f16 v8, v30, 0xb9e0, -v8
	v_fmamk_f16 v29, v3, 0x3574, v31
	v_fmamk_f16 v30, v4, 0x3574, v32
	v_fma_f16 v2, v2, 0x3b00, -v31
	v_fma_f16 v6, v6, 0x3b00, -v32
	;; [unrolled: 1-line block ×3, first 2 shown]
	v_lshlrev_b32_e32 v31, 16, v33
	v_and_b32_e32 v32, 0xffff, v19
	v_fmac_f16_e32 v19, 0xbcab, v23
	v_fmac_f16_e32 v33, 0xbcab, v24
	v_fma_f16 v3, v3, 0xb574, -v34
	v_fmac_f16_e32 v29, 0x370e, v5
	v_fmac_f16_e32 v30, 0x370e, v20
	;; [unrolled: 1-line block ×4, first 2 shown]
	v_add_f16_e32 v20, v21, v19
	v_add_f16_e32 v21, v22, v33
	v_fmac_f16_e32 v3, 0x370e, v5
	v_add_f16_e32 v7, v7, v19
	v_add_f16_e32 v8, v8, v33
	v_fmac_f16_e32 v2, 0x370e, v5
	v_add_f16_e32 v22, v27, v19
	v_add_f16_e32 v19, v28, v33
	v_or_b32_e32 v5, v31, v32
	v_add_f16_e32 v23, v30, v20
	v_sub_f16_e32 v24, v21, v29
	v_add_f16_e32 v27, v4, v7
	v_sub_f16_e32 v28, v8, v3
	v_sub_f16_e32 v31, v22, v6
	v_add_f16_e32 v32, v2, v19
	v_add_f16_e32 v6, v6, v22
	v_sub_f16_e32 v2, v19, v2
	v_sub_f16_e32 v4, v7, v4
	v_add_f16_e32 v3, v3, v8
	v_sub_f16_e32 v7, v20, v30
	v_add_f16_e32 v8, v29, v21
	global_store_b32 v[11:12], v5, off
	v_pack_b32_f16 v5, v23, v24
	v_pack_b32_f16 v11, v27, v28
	;; [unrolled: 1-line block ×6, first 2 shown]
	s_clause 0x5
	global_store_b32 v[13:14], v5, off
	global_store_b32 v[9:10], v11, off
	;; [unrolled: 1-line block ×6, first 2 shown]
	s_nop 0
	s_sendmsg sendmsg(MSG_DEALLOC_VGPRS)
	s_endpgm
	.section	.rodata,"a",@progbits
	.p2align	6, 0x0
	.amdhsa_kernel fft_rtc_fwd_len49_factors_7_7_wgs_196_tpt_7_half_op_CI_CI_sbrc_xy_z_diag_dirReg
		.amdhsa_group_segment_fixed_size 0
		.amdhsa_private_segment_fixed_size 0
		.amdhsa_kernarg_size 104
		.amdhsa_user_sgpr_count 2
		.amdhsa_user_sgpr_dispatch_ptr 0
		.amdhsa_user_sgpr_queue_ptr 0
		.amdhsa_user_sgpr_kernarg_segment_ptr 1
		.amdhsa_user_sgpr_dispatch_id 0
		.amdhsa_user_sgpr_private_segment_size 0
		.amdhsa_wavefront_size32 1
		.amdhsa_uses_dynamic_stack 0
		.amdhsa_enable_private_segment 0
		.amdhsa_system_sgpr_workgroup_id_x 1
		.amdhsa_system_sgpr_workgroup_id_y 0
		.amdhsa_system_sgpr_workgroup_id_z 0
		.amdhsa_system_sgpr_workgroup_info 0
		.amdhsa_system_vgpr_workitem_id 0
		.amdhsa_next_free_vgpr 46
		.amdhsa_next_free_sgpr 22
		.amdhsa_reserve_vcc 1
		.amdhsa_float_round_mode_32 0
		.amdhsa_float_round_mode_16_64 0
		.amdhsa_float_denorm_mode_32 3
		.amdhsa_float_denorm_mode_16_64 3
		.amdhsa_fp16_overflow 0
		.amdhsa_workgroup_processor_mode 1
		.amdhsa_memory_ordered 1
		.amdhsa_forward_progress 0
		.amdhsa_round_robin_scheduling 0
		.amdhsa_exception_fp_ieee_invalid_op 0
		.amdhsa_exception_fp_denorm_src 0
		.amdhsa_exception_fp_ieee_div_zero 0
		.amdhsa_exception_fp_ieee_overflow 0
		.amdhsa_exception_fp_ieee_underflow 0
		.amdhsa_exception_fp_ieee_inexact 0
		.amdhsa_exception_int_div_zero 0
	.end_amdhsa_kernel
	.text
.Lfunc_end0:
	.size	fft_rtc_fwd_len49_factors_7_7_wgs_196_tpt_7_half_op_CI_CI_sbrc_xy_z_diag_dirReg, .Lfunc_end0-fft_rtc_fwd_len49_factors_7_7_wgs_196_tpt_7_half_op_CI_CI_sbrc_xy_z_diag_dirReg
                                        ; -- End function
	.section	.AMDGPU.csdata,"",@progbits
; Kernel info:
; codeLenInByte = 2836
; NumSgprs: 24
; NumVgprs: 46
; ScratchSize: 0
; MemoryBound: 0
; FloatMode: 240
; IeeeMode: 1
; LDSByteSize: 0 bytes/workgroup (compile time only)
; SGPRBlocks: 2
; VGPRBlocks: 5
; NumSGPRsForWavesPerEU: 24
; NumVGPRsForWavesPerEU: 46
; Occupancy: 16
; WaveLimiterHint : 1
; COMPUTE_PGM_RSRC2:SCRATCH_EN: 0
; COMPUTE_PGM_RSRC2:USER_SGPR: 2
; COMPUTE_PGM_RSRC2:TRAP_HANDLER: 0
; COMPUTE_PGM_RSRC2:TGID_X_EN: 1
; COMPUTE_PGM_RSRC2:TGID_Y_EN: 0
; COMPUTE_PGM_RSRC2:TGID_Z_EN: 0
; COMPUTE_PGM_RSRC2:TIDIG_COMP_CNT: 0
	.text
	.p2alignl 7, 3214868480
	.fill 96, 4, 3214868480
	.type	__hip_cuid_59e8238f4b365f6,@object ; @__hip_cuid_59e8238f4b365f6
	.section	.bss,"aw",@nobits
	.globl	__hip_cuid_59e8238f4b365f6
__hip_cuid_59e8238f4b365f6:
	.byte	0                               ; 0x0
	.size	__hip_cuid_59e8238f4b365f6, 1

	.ident	"AMD clang version 19.0.0git (https://github.com/RadeonOpenCompute/llvm-project roc-6.4.0 25133 c7fe45cf4b819c5991fe208aaa96edf142730f1d)"
	.section	".note.GNU-stack","",@progbits
	.addrsig
	.addrsig_sym __hip_cuid_59e8238f4b365f6
	.amdgpu_metadata
---
amdhsa.kernels:
  - .args:
      - .actual_access:  read_only
        .address_space:  global
        .offset:         0
        .size:           8
        .value_kind:     global_buffer
      - .offset:         8
        .size:           8
        .value_kind:     by_value
      - .actual_access:  read_only
        .address_space:  global
        .offset:         16
        .size:           8
        .value_kind:     global_buffer
      - .actual_access:  read_only
        .address_space:  global
        .offset:         24
        .size:           8
        .value_kind:     global_buffer
      - .actual_access:  read_only
        .address_space:  global
        .offset:         32
        .size:           8
        .value_kind:     global_buffer
      - .offset:         40
        .size:           8
        .value_kind:     by_value
      - .actual_access:  read_only
        .address_space:  global
        .offset:         48
        .size:           8
        .value_kind:     global_buffer
      - .actual_access:  read_only
        .address_space:  global
        .offset:         56
        .size:           8
        .value_kind:     global_buffer
      - .offset:         64
        .size:           4
        .value_kind:     by_value
      - .actual_access:  read_only
        .address_space:  global
        .offset:         72
        .size:           8
        .value_kind:     global_buffer
      - .actual_access:  read_only
        .address_space:  global
        .offset:         80
        .size:           8
        .value_kind:     global_buffer
      - .actual_access:  read_only
        .address_space:  global
        .offset:         88
        .size:           8
        .value_kind:     global_buffer
      - .actual_access:  write_only
        .address_space:  global
        .offset:         96
        .size:           8
        .value_kind:     global_buffer
    .group_segment_fixed_size: 0
    .kernarg_segment_align: 8
    .kernarg_segment_size: 104
    .language:       OpenCL C
    .language_version:
      - 2
      - 0
    .max_flat_workgroup_size: 196
    .name:           fft_rtc_fwd_len49_factors_7_7_wgs_196_tpt_7_half_op_CI_CI_sbrc_xy_z_diag_dirReg
    .private_segment_fixed_size: 0
    .sgpr_count:     24
    .sgpr_spill_count: 0
    .symbol:         fft_rtc_fwd_len49_factors_7_7_wgs_196_tpt_7_half_op_CI_CI_sbrc_xy_z_diag_dirReg.kd
    .uniform_work_group_size: 1
    .uses_dynamic_stack: false
    .vgpr_count:     46
    .vgpr_spill_count: 0
    .wavefront_size: 32
    .workgroup_processor_mode: 1
amdhsa.target:   amdgcn-amd-amdhsa--gfx1201
amdhsa.version:
  - 1
  - 2
...

	.end_amdgpu_metadata
